;; amdgpu-corpus repo=ROCm/rocFFT kind=compiled arch=gfx1201 opt=O3
	.text
	.amdgcn_target "amdgcn-amd-amdhsa--gfx1201"
	.amdhsa_code_object_version 6
	.protected	fft_rtc_fwd_len130_factors_13_10_wgs_52_tpt_13_dp_ip_CI_unitstride_sbrr_R2C_dirReg ; -- Begin function fft_rtc_fwd_len130_factors_13_10_wgs_52_tpt_13_dp_ip_CI_unitstride_sbrr_R2C_dirReg
	.globl	fft_rtc_fwd_len130_factors_13_10_wgs_52_tpt_13_dp_ip_CI_unitstride_sbrr_R2C_dirReg
	.p2align	8
	.type	fft_rtc_fwd_len130_factors_13_10_wgs_52_tpt_13_dp_ip_CI_unitstride_sbrr_R2C_dirReg,@function
fft_rtc_fwd_len130_factors_13_10_wgs_52_tpt_13_dp_ip_CI_unitstride_sbrr_R2C_dirReg: ; @fft_rtc_fwd_len130_factors_13_10_wgs_52_tpt_13_dp_ip_CI_unitstride_sbrr_R2C_dirReg
; %bb.0:
	s_clause 0x2
	s_load_b128 s[4:7], s[0:1], 0x0
	s_load_b64 s[8:9], s[0:1], 0x50
	s_load_b64 s[10:11], s[0:1], 0x18
	v_mul_u32_u24_e32 v1, 0x13b2, v0
	v_mov_b32_e32 v3, 0
	s_delay_alu instid0(VALU_DEP_2) | instskip(SKIP_2) | instid1(VALU_DEP_4)
	v_lshrrev_b32_e32 v9, 16, v1
	v_mov_b32_e32 v1, 0
	v_mov_b32_e32 v2, 0
	;; [unrolled: 1-line block ×3, first 2 shown]
	s_delay_alu instid0(VALU_DEP_4) | instskip(SKIP_2) | instid1(VALU_DEP_1)
	v_lshl_add_u32 v5, ttmp9, 2, v9
	s_wait_kmcnt 0x0
	v_cmp_lt_u64_e64 s2, s[6:7], 2
	s_and_b32 vcc_lo, exec_lo, s2
	s_cbranch_vccnz .LBB0_8
; %bb.1:
	s_load_b64 s[2:3], s[0:1], 0x10
	v_mov_b32_e32 v1, 0
	v_mov_b32_e32 v2, 0
	s_add_nc_u64 s[12:13], s[10:11], 8
	s_mov_b64 s[14:15], 1
	s_wait_kmcnt 0x0
	s_add_nc_u64 s[16:17], s[2:3], 8
	s_mov_b32 s3, 0
.LBB0_2:                                ; =>This Inner Loop Header: Depth=1
	s_load_b64 s[18:19], s[16:17], 0x0
                                        ; implicit-def: $vgpr7_vgpr8
	s_mov_b32 s2, exec_lo
	s_wait_kmcnt 0x0
	v_or_b32_e32 v4, s19, v6
	s_delay_alu instid0(VALU_DEP_1)
	v_cmpx_ne_u64_e32 0, v[3:4]
	s_wait_alu 0xfffe
	s_xor_b32 s20, exec_lo, s2
	s_cbranch_execz .LBB0_4
; %bb.3:                                ;   in Loop: Header=BB0_2 Depth=1
	s_cvt_f32_u32 s2, s18
	s_cvt_f32_u32 s21, s19
	s_sub_nc_u64 s[24:25], 0, s[18:19]
	s_wait_alu 0xfffe
	s_delay_alu instid0(SALU_CYCLE_1) | instskip(SKIP_1) | instid1(SALU_CYCLE_2)
	s_fmamk_f32 s2, s21, 0x4f800000, s2
	s_wait_alu 0xfffe
	v_s_rcp_f32 s2, s2
	s_delay_alu instid0(TRANS32_DEP_1) | instskip(SKIP_1) | instid1(SALU_CYCLE_2)
	s_mul_f32 s2, s2, 0x5f7ffffc
	s_wait_alu 0xfffe
	s_mul_f32 s21, s2, 0x2f800000
	s_wait_alu 0xfffe
	s_delay_alu instid0(SALU_CYCLE_2) | instskip(SKIP_1) | instid1(SALU_CYCLE_2)
	s_trunc_f32 s21, s21
	s_wait_alu 0xfffe
	s_fmamk_f32 s2, s21, 0xcf800000, s2
	s_cvt_u32_f32 s23, s21
	s_wait_alu 0xfffe
	s_delay_alu instid0(SALU_CYCLE_1) | instskip(SKIP_1) | instid1(SALU_CYCLE_2)
	s_cvt_u32_f32 s22, s2
	s_wait_alu 0xfffe
	s_mul_u64 s[26:27], s[24:25], s[22:23]
	s_wait_alu 0xfffe
	s_mul_hi_u32 s29, s22, s27
	s_mul_i32 s28, s22, s27
	s_mul_hi_u32 s2, s22, s26
	s_mul_i32 s30, s23, s26
	s_wait_alu 0xfffe
	s_add_nc_u64 s[28:29], s[2:3], s[28:29]
	s_mul_hi_u32 s21, s23, s26
	s_mul_hi_u32 s31, s23, s27
	s_add_co_u32 s2, s28, s30
	s_wait_alu 0xfffe
	s_add_co_ci_u32 s2, s29, s21
	s_mul_i32 s26, s23, s27
	s_add_co_ci_u32 s27, s31, 0
	s_wait_alu 0xfffe
	s_add_nc_u64 s[26:27], s[2:3], s[26:27]
	s_wait_alu 0xfffe
	v_add_co_u32 v4, s2, s22, s26
	s_delay_alu instid0(VALU_DEP_1) | instskip(SKIP_1) | instid1(VALU_DEP_1)
	s_cmp_lg_u32 s2, 0
	s_add_co_ci_u32 s23, s23, s27
	v_readfirstlane_b32 s22, v4
	s_wait_alu 0xfffe
	s_delay_alu instid0(VALU_DEP_1)
	s_mul_u64 s[24:25], s[24:25], s[22:23]
	s_wait_alu 0xfffe
	s_mul_hi_u32 s27, s22, s25
	s_mul_i32 s26, s22, s25
	s_mul_hi_u32 s2, s22, s24
	s_mul_i32 s28, s23, s24
	s_wait_alu 0xfffe
	s_add_nc_u64 s[26:27], s[2:3], s[26:27]
	s_mul_hi_u32 s21, s23, s24
	s_mul_hi_u32 s22, s23, s25
	s_wait_alu 0xfffe
	s_add_co_u32 s2, s26, s28
	s_add_co_ci_u32 s2, s27, s21
	s_mul_i32 s24, s23, s25
	s_add_co_ci_u32 s25, s22, 0
	s_wait_alu 0xfffe
	s_add_nc_u64 s[24:25], s[2:3], s[24:25]
	s_wait_alu 0xfffe
	v_add_co_u32 v4, s2, v4, s24
	s_delay_alu instid0(VALU_DEP_1) | instskip(SKIP_1) | instid1(VALU_DEP_1)
	s_cmp_lg_u32 s2, 0
	s_add_co_ci_u32 s2, s23, s25
	v_mul_hi_u32 v14, v5, v4
	s_wait_alu 0xfffe
	v_mad_co_u64_u32 v[7:8], null, v5, s2, 0
	v_mad_co_u64_u32 v[10:11], null, v6, v4, 0
	;; [unrolled: 1-line block ×3, first 2 shown]
	s_delay_alu instid0(VALU_DEP_3) | instskip(SKIP_1) | instid1(VALU_DEP_4)
	v_add_co_u32 v4, vcc_lo, v14, v7
	s_wait_alu 0xfffd
	v_add_co_ci_u32_e32 v7, vcc_lo, 0, v8, vcc_lo
	s_delay_alu instid0(VALU_DEP_2) | instskip(SKIP_1) | instid1(VALU_DEP_2)
	v_add_co_u32 v4, vcc_lo, v4, v10
	s_wait_alu 0xfffd
	v_add_co_ci_u32_e32 v4, vcc_lo, v7, v11, vcc_lo
	s_wait_alu 0xfffd
	v_add_co_ci_u32_e32 v7, vcc_lo, 0, v13, vcc_lo
	s_delay_alu instid0(VALU_DEP_2) | instskip(SKIP_1) | instid1(VALU_DEP_2)
	v_add_co_u32 v4, vcc_lo, v4, v12
	s_wait_alu 0xfffd
	v_add_co_ci_u32_e32 v10, vcc_lo, 0, v7, vcc_lo
	s_delay_alu instid0(VALU_DEP_2) | instskip(SKIP_1) | instid1(VALU_DEP_3)
	v_mul_lo_u32 v11, s19, v4
	v_mad_co_u64_u32 v[7:8], null, s18, v4, 0
	v_mul_lo_u32 v12, s18, v10
	s_delay_alu instid0(VALU_DEP_2) | instskip(NEXT) | instid1(VALU_DEP_2)
	v_sub_co_u32 v7, vcc_lo, v5, v7
	v_add3_u32 v8, v8, v12, v11
	s_delay_alu instid0(VALU_DEP_1) | instskip(SKIP_1) | instid1(VALU_DEP_1)
	v_sub_nc_u32_e32 v11, v6, v8
	s_wait_alu 0xfffd
	v_subrev_co_ci_u32_e64 v11, s2, s19, v11, vcc_lo
	v_add_co_u32 v12, s2, v4, 2
	s_wait_alu 0xf1ff
	v_add_co_ci_u32_e64 v13, s2, 0, v10, s2
	v_sub_co_u32 v14, s2, v7, s18
	v_sub_co_ci_u32_e32 v8, vcc_lo, v6, v8, vcc_lo
	s_wait_alu 0xf1ff
	v_subrev_co_ci_u32_e64 v11, s2, 0, v11, s2
	s_delay_alu instid0(VALU_DEP_3) | instskip(NEXT) | instid1(VALU_DEP_3)
	v_cmp_le_u32_e32 vcc_lo, s18, v14
	v_cmp_eq_u32_e64 s2, s19, v8
	s_wait_alu 0xfffd
	v_cndmask_b32_e64 v14, 0, -1, vcc_lo
	v_cmp_le_u32_e32 vcc_lo, s19, v11
	s_wait_alu 0xfffd
	v_cndmask_b32_e64 v15, 0, -1, vcc_lo
	v_cmp_le_u32_e32 vcc_lo, s18, v7
	;; [unrolled: 3-line block ×3, first 2 shown]
	s_wait_alu 0xfffd
	v_cndmask_b32_e64 v16, 0, -1, vcc_lo
	v_cmp_eq_u32_e32 vcc_lo, s19, v11
	s_wait_alu 0xf1ff
	s_delay_alu instid0(VALU_DEP_2)
	v_cndmask_b32_e64 v7, v16, v7, s2
	s_wait_alu 0xfffd
	v_cndmask_b32_e32 v11, v15, v14, vcc_lo
	v_add_co_u32 v14, vcc_lo, v4, 1
	s_wait_alu 0xfffd
	v_add_co_ci_u32_e32 v15, vcc_lo, 0, v10, vcc_lo
	s_delay_alu instid0(VALU_DEP_3) | instskip(SKIP_1) | instid1(VALU_DEP_2)
	v_cmp_ne_u32_e32 vcc_lo, 0, v11
	s_wait_alu 0xfffd
	v_dual_cndmask_b32 v8, v15, v13 :: v_dual_cndmask_b32 v11, v14, v12
	v_cmp_ne_u32_e32 vcc_lo, 0, v7
	s_wait_alu 0xfffd
	s_delay_alu instid0(VALU_DEP_2)
	v_dual_cndmask_b32 v8, v10, v8 :: v_dual_cndmask_b32 v7, v4, v11
.LBB0_4:                                ;   in Loop: Header=BB0_2 Depth=1
	s_wait_alu 0xfffe
	s_and_not1_saveexec_b32 s2, s20
	s_cbranch_execz .LBB0_6
; %bb.5:                                ;   in Loop: Header=BB0_2 Depth=1
	v_cvt_f32_u32_e32 v4, s18
	s_sub_co_i32 s20, 0, s18
	s_delay_alu instid0(VALU_DEP_1) | instskip(NEXT) | instid1(TRANS32_DEP_1)
	v_rcp_iflag_f32_e32 v4, v4
	v_mul_f32_e32 v4, 0x4f7ffffe, v4
	s_delay_alu instid0(VALU_DEP_1) | instskip(SKIP_1) | instid1(VALU_DEP_1)
	v_cvt_u32_f32_e32 v4, v4
	s_wait_alu 0xfffe
	v_mul_lo_u32 v7, s20, v4
	s_delay_alu instid0(VALU_DEP_1) | instskip(NEXT) | instid1(VALU_DEP_1)
	v_mul_hi_u32 v7, v4, v7
	v_add_nc_u32_e32 v4, v4, v7
	s_delay_alu instid0(VALU_DEP_1) | instskip(NEXT) | instid1(VALU_DEP_1)
	v_mul_hi_u32 v4, v5, v4
	v_mul_lo_u32 v7, v4, s18
	v_add_nc_u32_e32 v8, 1, v4
	s_delay_alu instid0(VALU_DEP_2) | instskip(NEXT) | instid1(VALU_DEP_1)
	v_sub_nc_u32_e32 v7, v5, v7
	v_subrev_nc_u32_e32 v10, s18, v7
	v_cmp_le_u32_e32 vcc_lo, s18, v7
	s_wait_alu 0xfffd
	s_delay_alu instid0(VALU_DEP_2) | instskip(NEXT) | instid1(VALU_DEP_1)
	v_dual_cndmask_b32 v7, v7, v10 :: v_dual_cndmask_b32 v4, v4, v8
	v_cmp_le_u32_e32 vcc_lo, s18, v7
	s_delay_alu instid0(VALU_DEP_2) | instskip(SKIP_1) | instid1(VALU_DEP_1)
	v_add_nc_u32_e32 v8, 1, v4
	s_wait_alu 0xfffd
	v_dual_cndmask_b32 v7, v4, v8 :: v_dual_mov_b32 v8, v3
.LBB0_6:                                ;   in Loop: Header=BB0_2 Depth=1
	s_wait_alu 0xfffe
	s_or_b32 exec_lo, exec_lo, s2
	s_load_b64 s[20:21], s[12:13], 0x0
	s_delay_alu instid0(VALU_DEP_1)
	v_mul_lo_u32 v4, v8, s18
	v_mul_lo_u32 v12, v7, s19
	v_mad_co_u64_u32 v[10:11], null, v7, s18, 0
	s_add_nc_u64 s[14:15], s[14:15], 1
	s_add_nc_u64 s[12:13], s[12:13], 8
	s_wait_alu 0xfffe
	v_cmp_ge_u64_e64 s2, s[14:15], s[6:7]
	s_add_nc_u64 s[16:17], s[16:17], 8
	s_delay_alu instid0(VALU_DEP_2) | instskip(NEXT) | instid1(VALU_DEP_3)
	v_add3_u32 v4, v11, v12, v4
	v_sub_co_u32 v5, vcc_lo, v5, v10
	s_wait_alu 0xfffd
	s_delay_alu instid0(VALU_DEP_2) | instskip(SKIP_3) | instid1(VALU_DEP_2)
	v_sub_co_ci_u32_e32 v4, vcc_lo, v6, v4, vcc_lo
	s_and_b32 vcc_lo, exec_lo, s2
	s_wait_kmcnt 0x0
	v_mul_lo_u32 v6, s21, v5
	v_mul_lo_u32 v4, s20, v4
	v_mad_co_u64_u32 v[1:2], null, s20, v5, v[1:2]
	s_delay_alu instid0(VALU_DEP_1)
	v_add3_u32 v2, v6, v2, v4
	s_wait_alu 0xfffe
	s_cbranch_vccnz .LBB0_9
; %bb.7:                                ;   in Loop: Header=BB0_2 Depth=1
	v_dual_mov_b32 v5, v7 :: v_dual_mov_b32 v6, v8
	s_branch .LBB0_2
.LBB0_8:
	v_dual_mov_b32 v8, v6 :: v_dual_mov_b32 v7, v5
.LBB0_9:
	s_lshl_b64 s[2:3], s[6:7], 3
	v_mul_hi_u32 v3, 0x13b13b14, v0
	s_wait_alu 0xfffe
	s_add_nc_u64 s[2:3], s[10:11], s[2:3]
	v_and_b32_e32 v6, 3, v9
	s_load_b64 s[2:3], s[2:3], 0x0
	s_load_b64 s[0:1], s[0:1], 0x20
	s_delay_alu instid0(VALU_DEP_2) | instskip(NEXT) | instid1(VALU_DEP_1)
	v_mul_u32_u24_e32 v3, 13, v3
	v_sub_nc_u32_e32 v52, v0, v3
	s_delay_alu instid0(VALU_DEP_1)
	v_lshlrev_b32_e32 v69, 4, v52
	s_wait_kmcnt 0x0
	v_mul_lo_u32 v4, s2, v8
	v_mul_lo_u32 v5, s3, v7
	v_mad_co_u64_u32 v[1:2], null, s2, v7, v[1:2]
	v_cmp_gt_u64_e32 vcc_lo, s[0:1], v[7:8]
	s_delay_alu instid0(VALU_DEP_2) | instskip(SKIP_1) | instid1(VALU_DEP_2)
	v_add3_u32 v2, v5, v2, v4
	v_mul_u32_u24_e32 v4, 0x83, v6
	v_lshlrev_b64_e32 v[54:55], 4, v[1:2]
	s_delay_alu instid0(VALU_DEP_2)
	v_lshlrev_b32_e32 v71, 4, v4
	s_and_saveexec_b32 s1, vcc_lo
	s_cbranch_execz .LBB0_11
; %bb.10:
	v_mov_b32_e32 v53, 0
	s_delay_alu instid0(VALU_DEP_3) | instskip(SKIP_2) | instid1(VALU_DEP_3)
	v_add_co_u32 v2, s0, s8, v54
	s_wait_alu 0xf1ff
	v_add_co_ci_u32_e64 v3, s0, s9, v55, s0
	v_lshlrev_b64_e32 v[0:1], 4, v[52:53]
	v_add3_u32 v40, 0, v71, v69
	s_delay_alu instid0(VALU_DEP_2) | instskip(SKIP_1) | instid1(VALU_DEP_3)
	v_add_co_u32 v36, s0, v2, v0
	s_wait_alu 0xf1ff
	v_add_co_ci_u32_e64 v37, s0, v3, v1, s0
	s_clause 0x9
	global_load_b128 v[0:3], v[36:37], off
	global_load_b128 v[4:7], v[36:37], off offset:208
	global_load_b128 v[8:11], v[36:37], off offset:416
	;; [unrolled: 1-line block ×9, first 2 shown]
	s_wait_loadcnt 0x9
	ds_store_b128 v40, v[0:3]
	s_wait_loadcnt 0x8
	ds_store_b128 v40, v[4:7] offset:208
	s_wait_loadcnt 0x7
	ds_store_b128 v40, v[8:11] offset:416
	;; [unrolled: 2-line block ×9, first 2 shown]
.LBB0_11:
	s_wait_alu 0xfffe
	s_or_b32 exec_lo, exec_lo, s1
	v_add_nc_u32_e32 v53, 0, v71
	v_add3_u32 v70, 0, v69, v71
	global_wb scope:SCOPE_SE
	s_wait_dscnt 0x0
	s_barrier_signal -1
	s_barrier_wait -1
	v_add_nc_u32_e32 v68, v53, v69
	global_inv scope:SCOPE_SE
	s_mov_b32 s33, exec_lo
	ds_load_b128 v[40:43], v70 offset:320
	ds_load_b128 v[44:47], v70 offset:480
	ds_load_b128 v[16:19], v68
	ds_load_b128 v[48:51], v70 offset:160
	ds_load_b128 v[36:39], v70 offset:640
	;; [unrolled: 1-line block ×10, first 2 shown]
	global_wb scope:SCOPE_SE
	s_wait_dscnt 0x0
	s_barrier_signal -1
	s_barrier_wait -1
	global_inv scope:SCOPE_SE
	v_cmpx_gt_u32_e32 10, v52
	s_cbranch_execz .LBB0_13
; %bb.12:
	v_add_f64_e32 v[56:57], v[18:19], v[50:51]
	v_add_f64_e32 v[58:59], v[16:17], v[48:49]
	;; [unrolled: 1-line block ×3, first 2 shown]
	v_add_f64_e64 v[90:91], v[36:37], -v[12:13]
	v_add_f64_e32 v[92:93], v[36:37], v[12:13]
	v_add_f64_e64 v[94:95], v[38:39], -v[14:15]
	v_add_f64_e32 v[72:73], v[50:51], v[2:3]
	;; [unrolled: 2-line block ×3, first 2 shown]
	v_add_f64_e64 v[62:63], v[32:33], -v[20:21]
	v_add_f64_e64 v[64:65], v[34:35], -v[22:23]
	s_mov_b32 s12, 0xebaa3ed8
	s_mov_b32 s16, 0x66966769
	;; [unrolled: 1-line block ×27, first 2 shown]
	v_add_f64_e32 v[60:61], v[56:57], v[42:43]
	v_add_f64_e32 v[58:59], v[58:59], v[40:41]
	s_wait_alu 0xfffe
	s_mov_b32 s22, s20
	s_mov_b32 s28, s24
	;; [unrolled: 1-line block ×3, first 2 shown]
	v_add_f64_e32 v[56:57], v[30:31], v[26:27]
	v_add_f64_e64 v[50:51], v[28:29], -v[24:25]
	v_add_f64_e64 v[76:77], v[48:49], -v[0:1]
	v_add_f64_e32 v[82:83], v[48:49], v[0:1]
	v_add_f64_e32 v[48:49], v[28:29], v[24:25]
	;; [unrolled: 1-line block ×4, first 2 shown]
	v_add_f64_e64 v[42:43], v[42:43], -v[6:7]
	v_mul_f64_e32 v[100:101], s[2:3], v[72:73]
	v_mul_f64_e32 v[102:103], s[28:29], v[74:75]
	;; [unrolled: 1-line block ×8, first 2 shown]
	s_mov_b32 s37, 0x3fefc445
	s_mov_b32 s41, 0x3fea55e2
	;; [unrolled: 1-line block ×6, first 2 shown]
	v_add_f64_e64 v[96:97], v[44:45], -v[8:9]
	v_add_f64_e64 v[98:99], v[40:41], -v[4:5]
	v_add_f64_e32 v[40:41], v[40:41], v[4:5]
	v_mul_f64_e32 v[156:157], s[12:13], v[88:89]
	v_mul_f64_e32 v[158:159], s[18:19], v[88:89]
	;; [unrolled: 1-line block ×7, first 2 shown]
	v_add_f64_e32 v[78:79], v[60:61], v[46:47]
	v_add_f64_e32 v[80:81], v[58:59], v[44:45]
	;; [unrolled: 1-line block ×3, first 2 shown]
	v_add_f64_e64 v[58:59], v[30:31], -v[26:27]
	v_add_f64_e64 v[46:47], v[46:47], -v[10:11]
	v_add_f64_e32 v[44:45], v[44:45], v[8:9]
	v_mul_f64_e32 v[116:117], s[2:3], v[84:85]
	v_mul_f64_e32 v[118:119], s[6:7], v[84:85]
	;; [unrolled: 1-line block ×15, first 2 shown]
	s_wait_alu 0xfffe
	v_mul_f64_e32 v[142:143], s[22:23], v[42:43]
	v_mul_f64_e32 v[144:145], s[30:31], v[42:43]
	v_mul_f64_e32 v[42:43], s[34:35], v[42:43]
	v_fma_f64 v[166:167], v[76:77], s[24:25], v[100:101]
	v_fma_f64 v[168:169], v[82:83], s[2:3], v[102:103]
	;; [unrolled: 1-line block ×3, first 2 shown]
	v_fma_f64 v[102:103], v[82:83], s[2:3], -v[102:103]
	v_fma_f64 v[170:171], v[76:77], s[14:15], v[104:105]
	v_fma_f64 v[172:173], v[82:83], s[10:11], v[106:107]
	;; [unrolled: 1-line block ×3, first 2 shown]
	v_fma_f64 v[106:107], v[82:83], s[10:11], -v[106:107]
	v_fma_f64 v[174:175], v[76:77], s[36:37], v[108:109]
	v_fma_f64 v[176:177], v[82:83], s[12:13], v[110:111]
	v_add_f64_e32 v[38:39], v[78:79], v[38:39]
	v_add_f64_e32 v[36:37], v[80:81], v[36:37]
	v_mul_f64_e32 v[78:79], s[0:1], v[72:73]
	v_mul_f64_e32 v[80:81], s[22:23], v[74:75]
	;; [unrolled: 1-line block ×10, first 2 shown]
	v_fma_f64 v[108:109], v[76:77], s[16:17], v[108:109]
	v_fma_f64 v[110:111], v[82:83], s[12:13], -v[110:111]
	v_fma_f64 v[178:179], v[76:77], s[40:41], v[112:113]
	v_fma_f64 v[180:181], v[82:83], s[6:7], v[114:115]
	;; [unrolled: 1-line block ×3, first 2 shown]
	v_fma_f64 v[114:115], v[82:83], s[6:7], -v[114:115]
	v_fma_f64 v[186:187], v[96:97], s[26:27], v[120:121]
	v_fma_f64 v[120:121], v[96:97], s[38:39], v[120:121]
	;; [unrolled: 1-line block ×15, first 2 shown]
	v_fma_f64 v[138:139], v[40:41], s[12:13], -v[138:139]
	v_fma_f64 v[202:203], v[40:41], s[2:3], v[140:141]
	v_fma_f64 v[140:141], v[40:41], s[2:3], -v[140:141]
	v_fma_f64 v[204:205], v[40:41], s[0:1], v[142:143]
	v_fma_f64 v[142:143], v[40:41], s[0:1], -v[142:143]
	v_add_f64_e32 v[34:35], v[38:39], v[34:35]
	v_add_f64_e32 v[32:33], v[36:37], v[32:33]
	v_mul_f64_e32 v[36:37], s[6:7], v[88:89]
	v_mul_f64_e32 v[38:39], s[0:1], v[88:89]
	;; [unrolled: 1-line block ×3, first 2 shown]
	v_fma_f64 v[162:163], v[76:77], s[20:21], v[78:79]
	v_fma_f64 v[164:165], v[82:83], s[0:1], v[80:81]
	;; [unrolled: 1-line block ×3, first 2 shown]
	v_fma_f64 v[80:81], v[82:83], s[0:1], -v[80:81]
	v_fma_f64 v[182:183], v[76:77], s[38:39], v[72:73]
	v_fma_f64 v[184:185], v[82:83], s[18:19], v[74:75]
	;; [unrolled: 1-line block ×3, first 2 shown]
	v_fma_f64 v[74:75], v[82:83], s[18:19], -v[74:75]
	v_fma_f64 v[76:77], v[96:97], s[24:25], v[116:117]
	v_fma_f64 v[82:83], v[96:97], s[28:29], v[116:117]
	;; [unrolled: 1-line block ×5, first 2 shown]
	v_fma_f64 v[144:145], v[40:41], s[10:11], -v[144:145]
	v_fma_f64 v[208:209], v[40:41], s[6:7], v[42:43]
	v_fma_f64 v[210:211], v[44:45], s[6:7], v[148:149]
	v_fma_f64 v[148:149], v[44:45], s[6:7], -v[148:149]
	v_fma_f64 v[212:213], v[44:45], s[18:19], v[150:151]
	v_fma_f64 v[150:151], v[44:45], s[18:19], -v[150:151]
	v_fma_f64 v[214:215], v[44:45], s[12:13], v[46:47]
	v_add_f64_e32 v[166:167], v[18:19], v[166:167]
	v_add_f64_e32 v[168:169], v[16:17], v[168:169]
	;; [unrolled: 1-line block ×15, first 2 shown]
	v_fma_f64 v[32:33], v[96:97], s[30:31], v[122:123]
	v_fma_f64 v[34:35], v[96:97], s[14:15], v[122:123]
	;; [unrolled: 1-line block ×7, first 2 shown]
	v_fma_f64 v[136:137], v[40:41], s[18:19], -v[136:137]
	v_fma_f64 v[40:41], v[40:41], s[6:7], -v[42:43]
	v_fma_f64 v[42:43], v[44:45], s[2:3], v[146:147]
	v_fma_f64 v[146:147], v[44:45], s[2:3], -v[146:147]
	v_add_f64_e32 v[162:163], v[18:19], v[162:163]
	v_add_f64_e32 v[164:165], v[16:17], v[164:165]
	;; [unrolled: 1-line block ×11, first 2 shown]
	v_fma_f64 v[72:73], v[90:91], s[22:23], v[38:39]
	v_fma_f64 v[38:39], v[90:91], s[20:21], v[38:39]
	;; [unrolled: 1-line block ×7, first 2 shown]
	v_fma_f64 v[218:219], v[92:93], s[0:1], -v[218:219]
	v_fma_f64 v[230:231], v[92:93], s[12:13], v[220:221]
	v_fma_f64 v[220:221], v[92:93], s[12:13], -v[220:221]
	v_fma_f64 v[232:233], v[92:93], s[18:19], v[222:223]
	;; [unrolled: 2-line block ×3, first 2 shown]
	v_fma_f64 v[224:225], v[92:93], s[2:3], -v[224:225]
	v_add_f64_e32 v[26:27], v[30:31], v[26:27]
	v_add_f64_e32 v[24:25], v[28:29], v[24:25]
	v_fma_f64 v[28:29], v[44:45], s[10:11], v[152:153]
	v_fma_f64 v[30:31], v[44:45], s[10:11], -v[152:153]
	v_fma_f64 v[152:153], v[44:45], s[0:1], v[154:155]
	v_fma_f64 v[154:155], v[44:45], s[0:1], -v[154:155]
	v_fma_f64 v[44:45], v[44:45], s[12:13], -v[46:47]
	v_fma_f64 v[46:47], v[90:91], s[34:35], v[36:37]
	v_fma_f64 v[36:37], v[90:91], s[40:41], v[36:37]
	v_add_f64_e32 v[100:101], v[128:129], v[100:101]
	v_add_f64_e32 v[102:103], v[138:139], v[102:103]
	;; [unrolled: 1-line block ×14, first 2 shown]
	v_mul_f64_e32 v[138:139], s[18:19], v[66:67]
	v_mul_f64_e32 v[142:143], s[30:31], v[64:65]
	v_add_f64_e32 v[168:169], v[196:197], v[178:179]
	v_add_f64_e32 v[172:173], v[206:207], v[180:181]
	;; [unrolled: 1-line block ×5, first 2 shown]
	v_mul_f64_e32 v[132:133], s[12:13], v[66:67]
	v_mul_f64_e32 v[170:171], s[38:39], v[64:65]
	;; [unrolled: 1-line block ×8, first 2 shown]
	v_add_f64_e32 v[22:23], v[26:27], v[22:23]
	v_add_f64_e32 v[20:21], v[24:25], v[20:21]
	v_fma_f64 v[24:25], v[90:91], s[26:27], v[158:159]
	v_fma_f64 v[26:27], v[90:91], s[38:39], v[158:159]
	;; [unrolled: 1-line block ×4, first 2 shown]
	v_mul_f64_e32 v[90:91], s[40:41], v[94:95]
	v_mul_f64_e32 v[94:95], s[30:31], v[94:95]
	;; [unrolled: 1-line block ×3, first 2 shown]
	v_add_f64_e32 v[100:101], v[118:119], v[100:101]
	v_add_f64_e32 v[102:103], v[148:149], v[102:103]
	;; [unrolled: 1-line block ×3, first 2 shown]
	v_mul_f64_e32 v[178:179], s[12:13], v[56:57]
	v_add_f64_e32 v[30:31], v[30:31], v[110:111]
	v_add_f64_e32 v[80:81], v[146:147], v[80:81]
	;; [unrolled: 1-line block ×8, first 2 shown]
	v_fma_f64 v[184:185], v[62:63], s[26:27], v[138:139]
	v_fma_f64 v[136:137], v[60:61], s[10:11], v[142:143]
	v_add_f64_e32 v[122:123], v[122:123], v[168:169]
	v_mul_f64_e32 v[82:83], s[18:19], v[56:57]
	v_add_f64_e32 v[18:19], v[84:85], v[18:19]
	v_add_f64_e32 v[16:17], v[44:45], v[16:17]
	;; [unrolled: 1-line block ×3, first 2 shown]
	v_mul_f64_e32 v[146:147], s[40:41], v[58:59]
	v_fma_f64 v[124:125], v[60:61], s[18:19], -v[170:171]
	v_fma_f64 v[154:155], v[60:61], s[6:7], v[134:135]
	v_add_f64_e32 v[14:15], v[22:23], v[14:15]
	v_add_f64_e32 v[22:23], v[32:33], v[140:141]
	;; [unrolled: 1-line block ×5, first 2 shown]
	v_fma_f64 v[34:35], v[62:63], s[38:39], v[138:139]
	v_fma_f64 v[226:227], v[92:93], s[6:7], v[90:91]
	v_fma_f64 v[90:91], v[92:93], s[6:7], -v[90:91]
	v_fma_f64 v[236:237], v[92:93], s[10:11], v[94:95]
	v_fma_f64 v[92:93], v[92:93], s[10:11], -v[94:95]
	v_add_f64_e32 v[94:95], v[96:97], v[162:163]
	v_add_f64_e32 v[96:97], v[98:99], v[164:165]
	;; [unrolled: 1-line block ×5, first 2 shown]
	v_mul_f64_e32 v[162:163], s[0:1], v[66:67]
	v_mul_f64_e32 v[166:167], s[6:7], v[66:67]
	v_fma_f64 v[138:139], v[60:61], s[10:11], -v[142:143]
	v_add_f64_e32 v[142:143], v[152:153], v[172:173]
	v_mul_f64_e32 v[66:67], s[2:3], v[66:67]
	v_add_f64_e32 v[38:39], v[38:39], v[100:101]
	v_add_f64_e32 v[30:31], v[222:223], v[30:31]
	v_fma_f64 v[100:101], v[62:63], s[36:37], v[132:133]
	v_add_f64_e32 v[112:113], v[160:161], v[112:113]
	v_add_f64_e32 v[114:115], v[224:225], v[114:115]
	v_mul_f64_e32 v[182:183], s[36:37], v[58:59]
	v_fma_f64 v[152:153], v[60:61], s[0:1], -v[174:175]
	v_add_f64_e32 v[74:75], v[74:75], v[118:119]
	v_fma_f64 v[140:141], v[60:61], s[18:19], v[170:171]
	v_fma_f64 v[150:151], v[60:61], s[0:1], v[174:175]
	v_add_f64_e32 v[36:37], v[36:37], v[78:79]
	v_add_f64_e32 v[78:79], v[228:229], v[126:127]
	v_add_f64_e32 v[84:85], v[230:231], v[128:129]
	v_add_f64_e32 v[18:19], v[88:89], v[18:19]
	v_add_f64_e32 v[10:11], v[14:15], v[10:11]
	v_add_f64_e32 v[14:15], v[24:25], v[22:23]
	v_add_f64_e32 v[22:23], v[26:27], v[32:33]
	v_mul_f64_e32 v[24:25], s[38:39], v[58:59]
	v_fma_f64 v[32:33], v[60:61], s[6:7], -v[134:135]
	v_mul_f64_e32 v[26:27], s[28:29], v[58:59]
	v_add_f64_e32 v[8:9], v[12:13], v[8:9]
	v_add_f64_e32 v[12:13], v[220:221], v[20:21]
	;; [unrolled: 1-line block ×9, first 2 shown]
	v_fma_f64 v[108:109], v[62:63], s[20:21], v[162:163]
	v_fma_f64 v[120:121], v[62:63], s[40:41], v[166:167]
	;; [unrolled: 1-line block ×3, first 2 shown]
	v_mul_f64_e32 v[96:97], s[2:3], v[56:57]
	v_fma_f64 v[116:117], v[62:63], s[14:15], v[130:131]
	v_mul_f64_e32 v[94:95], s[6:7], v[56:57]
	v_fma_f64 v[106:107], v[62:63], s[22:23], v[162:163]
	v_add_f64_e32 v[118:119], v[234:235], v[142:143]
	v_fma_f64 v[130:131], v[62:63], s[30:31], v[130:131]
	v_mul_f64_e32 v[56:57], s[0:1], v[56:57]
	v_add_f64_e32 v[34:35], v[34:35], v[38:39]
	v_add_f64_e32 v[88:89], v[8:9], v[4:5]
	v_fma_f64 v[4:5], v[50:51], s[16:17], v[178:179]
	v_fma_f64 v[8:9], v[48:49], s[12:13], v[182:183]
	v_add_f64_e32 v[46:47], v[46:47], v[76:77]
	v_add_f64_e32 v[76:77], v[90:91], v[80:81]
	;; [unrolled: 1-line block ×4, first 2 shown]
	v_fma_f64 v[104:105], v[60:61], s[12:13], -v[144:145]
	v_add_f64_e32 v[72:73], v[72:73], v[98:99]
	v_add_f64_e32 v[20:21], v[232:233], v[28:29]
	v_mul_f64_e32 v[28:29], s[22:23], v[58:59]
	v_fma_f64 v[58:59], v[62:63], s[16:17], v[132:133]
	v_add_f64_e32 v[98:99], v[158:159], v[122:123]
	v_fma_f64 v[102:103], v[60:61], s[12:13], v[144:145]
	v_add_f64_e32 v[42:43], v[226:227], v[42:43]
	;; [unrolled: 2-line block ×3, first 2 shown]
	v_fma_f64 v[62:63], v[62:63], s[28:29], v[66:67]
	v_fma_f64 v[66:67], v[60:61], s[2:3], -v[64:65]
	v_fma_f64 v[60:61], v[60:61], s[2:3], v[64:65]
	v_add_f64_e32 v[92:93], v[120:121], v[14:15]
	v_fma_f64 v[14:15], v[50:51], s[14:15], v[86:87]
	v_add_f64_e32 v[74:75], v[106:107], v[74:75]
	v_add_f64_e32 v[36:37], v[130:131], v[36:37]
	v_fma_f64 v[120:121], v[48:49], s[2:3], v[26:27]
	v_add_f64_e32 v[0:1], v[88:89], v[0:1]
	v_add_f64_e32 v[46:47], v[116:117], v[46:47]
	v_fma_f64 v[116:117], v[48:49], s[2:3], -v[26:27]
	v_add_f64_e32 v[38:39], v[124:125], v[80:81]
	v_add_f64_e32 v[80:81], v[108:109], v[90:91]
	;; [unrolled: 1-line block ×4, first 2 shown]
	v_fma_f64 v[22:23], v[50:51], s[30:31], v[86:87]
	v_add_f64_e32 v[32:33], v[100:101], v[112:113]
	v_add_f64_e32 v[86:87], v[104:105], v[114:115]
	v_fma_f64 v[112:113], v[50:51], s[38:39], v[82:83]
	v_fma_f64 v[114:115], v[48:49], s[18:19], -v[24:25]
	v_fma_f64 v[30:31], v[48:49], s[10:11], -v[40:41]
	v_fma_f64 v[104:105], v[50:51], s[24:25], v[96:97]
	v_fma_f64 v[96:97], v[50:51], s[28:29], v[96:97]
	v_add_f64_e32 v[90:91], v[152:153], v[12:13]
	v_add_f64_e32 v[106:107], v[154:155], v[20:21]
	;; [unrolled: 1-line block ×3, first 2 shown]
	v_fma_f64 v[20:21], v[48:49], s[10:11], v[40:41]
	v_add_f64_e32 v[40:41], v[102:103], v[118:119]
	v_fma_f64 v[98:99], v[50:51], s[34:35], v[94:95]
	v_fma_f64 v[94:95], v[50:51], s[40:41], v[94:95]
	v_fma_f64 v[118:119], v[48:49], s[6:7], -v[146:147]
	v_add_f64_e32 v[42:43], v[136:137], v[42:43]
	v_add_f64_e32 v[64:65], v[138:139], v[76:77]
	;; [unrolled: 1-line block ×5, first 2 shown]
	v_fma_f64 v[10:11], v[50:51], s[36:37], v[178:179]
	v_fma_f64 v[12:13], v[48:49], s[12:13], -v[182:183]
	v_add_f64_e32 v[72:73], v[184:185], v[72:73]
	v_fma_f64 v[102:103], v[48:49], s[6:7], v[146:147]
	v_add_f64_e32 v[100:101], v[122:123], v[126:127]
	v_fma_f64 v[122:123], v[50:51], s[22:23], v[56:57]
	v_add_f64_e32 v[62:63], v[62:63], v[18:19]
	v_add_f64_e32 v[66:67], v[66:67], v[16:17]
	v_fma_f64 v[124:125], v[48:49], s[0:1], -v[28:29]
	v_fma_f64 v[82:83], v[50:51], s[26:27], v[82:83]
	v_fma_f64 v[50:51], v[50:51], s[20:21], v[56:57]
	;; [unrolled: 1-line block ×4, first 2 shown]
	v_add_f64_e32 v[60:61], v[60:61], v[44:45]
	v_add_f64_e32 v[6:7], v[4:5], v[46:47]
	;; [unrolled: 1-line block ×25, first 2 shown]
	v_mul_u32_u24_e32 v56, 0xd0, v52
	v_add_f64_e32 v[48:49], v[48:49], v[60:61]
	s_delay_alu instid0(VALU_DEP_2)
	v_add3_u32 v56, 0, v56, v71
	ds_store_b128 v56, v[32:35] offset:32
	ds_store_b128 v56, v[28:31] offset:48
	;; [unrolled: 1-line block ×9, first 2 shown]
	ds_store_b128 v56, v[0:3]
	ds_store_b128 v56, v[36:39] offset:160
	ds_store_b128 v56, v[40:43] offset:176
	;; [unrolled: 1-line block ×3, first 2 shown]
.LBB0_13:
	s_or_b32 exec_lo, exec_lo, s33
	v_mul_u32_u24_e32 v0, 9, v52
	global_wb scope:SCOPE_SE
	s_wait_dscnt 0x0
	s_barrier_signal -1
	s_barrier_wait -1
	global_inv scope:SCOPE_SE
	v_lshlrev_b32_e32 v32, 4, v0
	s_mov_b32 s2, 0x134454ff
	s_mov_b32 s3, 0x3fee6f0e
	;; [unrolled: 1-line block ×3, first 2 shown]
	s_wait_alu 0xfffe
	s_mov_b32 s0, s2
	s_clause 0x8
	global_load_b128 v[0:3], v32, s[4:5] offset:32
	global_load_b128 v[4:7], v32, s[4:5] offset:64
	;; [unrolled: 1-line block ×4, first 2 shown]
	global_load_b128 v[16:19], v32, s[4:5]
	global_load_b128 v[20:23], v32, s[4:5] offset:16
	global_load_b128 v[24:27], v32, s[4:5] offset:48
	;; [unrolled: 1-line block ×4, first 2 shown]
	ds_load_b128 v[36:39], v70 offset:624
	ds_load_b128 v[40:43], v70 offset:1040
	;; [unrolled: 1-line block ×6, first 2 shown]
	s_mov_b32 s10, 0x4755a5e
	s_mov_b32 s11, 0x3fe2cf23
	;; [unrolled: 1-line block ×3, first 2 shown]
	s_wait_alu 0xfffe
	s_mov_b32 s6, s10
	s_mov_b32 s12, 0x372fe950
	;; [unrolled: 1-line block ×5, first 2 shown]
	s_wait_loadcnt_dscnt 0x805
	v_mul_f64_e32 v[64:65], v[38:39], v[2:3]
	v_mul_f64_e32 v[2:3], v[36:37], v[2:3]
	s_wait_loadcnt_dscnt 0x704
	v_mul_f64_e32 v[66:67], v[42:43], v[6:7]
	v_mul_f64_e32 v[6:7], v[40:41], v[6:7]
	s_wait_loadcnt_dscnt 0x603
	v_mul_f64_e32 v[71:72], v[44:45], v[10:11]
	s_wait_loadcnt_dscnt 0x502
	v_mul_f64_e32 v[73:74], v[48:49], v[14:15]
	v_mul_f64_e32 v[14:15], v[50:51], v[14:15]
	;; [unrolled: 1-line block ×3, first 2 shown]
	s_wait_loadcnt_dscnt 0x401
	v_mul_f64_e32 v[75:76], v[58:59], v[18:19]
	v_mul_f64_e32 v[18:19], v[56:57], v[18:19]
	v_fma_f64 v[36:37], v[36:37], v[0:1], -v[64:65]
	v_fma_f64 v[38:39], v[38:39], v[0:1], v[2:3]
	v_fma_f64 v[40:41], v[40:41], v[4:5], -v[66:67]
	v_fma_f64 v[42:43], v[42:43], v[4:5], v[6:7]
	v_fma_f64 v[46:47], v[46:47], v[8:9], v[71:72]
	;; [unrolled: 1-line block ×3, first 2 shown]
	v_fma_f64 v[12:13], v[48:49], v[12:13], -v[14:15]
	v_fma_f64 v[14:15], v[44:45], v[8:9], -v[10:11]
	ds_load_b128 v[0:3], v70 offset:832
	ds_load_b128 v[4:7], v70 offset:1248
	;; [unrolled: 1-line block ×3, first 2 shown]
	s_wait_loadcnt_dscnt 0x303
	v_mul_f64_e32 v[44:45], v[62:63], v[22:23]
	v_mul_f64_e32 v[22:23], v[60:61], v[22:23]
	v_fma_f64 v[56:57], v[56:57], v[16:17], -v[75:76]
	v_fma_f64 v[16:17], v[58:59], v[16:17], v[18:19]
	s_wait_loadcnt_dscnt 0x202
	v_mul_f64_e32 v[48:49], v[2:3], v[26:27]
	v_mul_f64_e32 v[26:27], v[0:1], v[26:27]
	s_wait_loadcnt_dscnt 0x101
	v_mul_f64_e32 v[64:65], v[6:7], v[30:31]
	s_wait_loadcnt_dscnt 0x0
	v_mul_f64_e32 v[66:67], v[10:11], v[34:35]
	v_mul_f64_e32 v[30:31], v[4:5], v[30:31]
	;; [unrolled: 1-line block ×3, first 2 shown]
	v_add_f64_e64 v[75:76], v[40:41], -v[36:37]
	v_add_f64_e64 v[79:80], v[38:39], -v[42:43]
	v_add_f64_e32 v[18:19], v[42:43], v[46:47]
	v_add_f64_e32 v[58:59], v[38:39], v[50:51]
	;; [unrolled: 1-line block ×4, first 2 shown]
	v_add_f64_e64 v[77:78], v[14:15], -v[12:13]
	v_fma_f64 v[44:45], v[60:61], v[20:21], -v[44:45]
	v_fma_f64 v[20:21], v[62:63], v[20:21], v[22:23]
	v_add_f64_e64 v[81:82], v[50:51], -v[46:47]
	v_add_f64_e64 v[83:84], v[42:43], -v[38:39]
	;; [unrolled: 1-line block ×3, first 2 shown]
	v_fma_f64 v[22:23], v[0:1], v[24:25], -v[48:49]
	v_fma_f64 v[24:25], v[2:3], v[24:25], v[26:27]
	v_fma_f64 v[4:5], v[4:5], v[28:29], -v[64:65]
	v_fma_f64 v[8:9], v[8:9], v[32:33], -v[66:67]
	v_fma_f64 v[6:7], v[6:7], v[28:29], v[30:31]
	v_fma_f64 v[10:11], v[10:11], v[32:33], v[34:35]
	v_add_f64_e64 v[26:27], v[38:39], -v[50:51]
	v_add_f64_e64 v[30:31], v[36:37], -v[12:13]
	;; [unrolled: 1-line block ×4, first 2 shown]
	ds_load_b128 v[0:3], v68
	global_wb scope:SCOPE_SE
	s_wait_dscnt 0x0
	s_barrier_signal -1
	s_barrier_wait -1
	global_inv scope:SCOPE_SE
	v_fma_f64 v[18:19], v[18:19], -0.5, v[16:17]
	v_fma_f64 v[34:35], v[58:59], -0.5, v[16:17]
	;; [unrolled: 1-line block ×4, first 2 shown]
	v_add_f64_e64 v[71:72], v[36:37], -v[40:41]
	v_add_f64_e64 v[73:74], v[12:13], -v[14:15]
	v_add_f64_e32 v[36:37], v[56:57], v[36:37]
	v_add_f64_e32 v[16:17], v[16:17], v[38:39]
	;; [unrolled: 1-line block ×8, first 2 shown]
	v_add_f64_e64 v[97:98], v[20:21], -v[10:11]
	v_add_f64_e64 v[103:104], v[44:45], -v[8:9]
	;; [unrolled: 1-line block ×4, first 2 shown]
	v_fma_f64 v[87:88], v[30:31], s[0:1], v[18:19]
	v_fma_f64 v[89:90], v[32:33], s[2:3], v[34:35]
	v_fma_f64 v[91:92], v[28:29], s[2:3], v[48:49]
	v_fma_f64 v[93:94], v[26:27], s[0:1], v[58:59]
	v_fma_f64 v[58:59], v[26:27], s[2:3], v[58:59]
	v_fma_f64 v[48:49], v[28:29], s[0:1], v[48:49]
	v_fma_f64 v[34:35], v[32:33], s[0:1], v[34:35]
	v_fma_f64 v[18:19], v[30:31], s[2:3], v[18:19]
	v_add_f64_e32 v[36:37], v[36:37], v[40:41]
	v_add_f64_e32 v[16:17], v[16:17], v[42:43]
	v_fma_f64 v[38:39], v[60:61], -0.5, v[0:1]
	v_fma_f64 v[0:1], v[62:63], -0.5, v[0:1]
	;; [unrolled: 1-line block ×3, first 2 shown]
	v_add_f64_e32 v[60:61], v[71:72], v[73:74]
	v_add_f64_e32 v[62:63], v[75:76], v[77:78]
	;; [unrolled: 1-line block ×3, first 2 shown]
	v_fma_f64 v[2:3], v[66:67], -0.5, v[2:3]
	v_add_f64_e32 v[66:67], v[83:84], v[85:86]
	v_add_f64_e64 v[79:80], v[10:11], -v[6:7]
	v_add_f64_e64 v[81:82], v[6:7], -v[10:11]
	s_wait_alu 0xfffe
	v_fma_f64 v[71:72], v[32:33], s[6:7], v[87:88]
	v_fma_f64 v[73:74], v[30:31], s[6:7], v[89:90]
	;; [unrolled: 1-line block ×8, first 2 shown]
	v_add_f64_e64 v[32:33], v[44:45], -v[22:23]
	v_add_f64_e64 v[44:45], v[22:23], -v[44:45]
	;; [unrolled: 1-line block ×4, first 2 shown]
	v_add_f64_e32 v[22:23], v[95:96], v[22:23]
	v_add_f64_e32 v[24:25], v[101:102], v[24:25]
	v_add_f64_e64 v[34:35], v[8:9], -v[4:5]
	v_add_f64_e64 v[48:49], v[4:5], -v[8:9]
	v_add_f64_e32 v[14:15], v[36:37], v[14:15]
	v_add_f64_e32 v[16:17], v[16:17], v[46:47]
	v_fma_f64 v[40:41], v[97:98], s[2:3], v[38:39]
	v_fma_f64 v[38:39], v[97:98], s[0:1], v[38:39]
	;; [unrolled: 1-line block ×16, first 2 shown]
	v_add_f64_e32 v[20:21], v[20:21], v[81:82]
	v_add_f64_e32 v[4:5], v[22:23], v[4:5]
	;; [unrolled: 1-line block ×6, first 2 shown]
	v_fma_f64 v[22:23], v[99:100], s[10:11], v[40:41]
	v_fma_f64 v[24:25], v[99:100], s[6:7], v[38:39]
	;; [unrolled: 1-line block ×8, first 2 shown]
	v_mul_f64_e32 v[46:47], s[10:11], v[71:72]
	v_mul_f64_e32 v[48:49], s[2:3], v[73:74]
	;; [unrolled: 1-line block ×8, first 2 shown]
	v_add_f64_e32 v[4:5], v[4:5], v[8:9]
	v_add_f64_e32 v[6:7], v[6:7], v[10:11]
	;; [unrolled: 1-line block ×4, first 2 shown]
	v_fma_f64 v[50:51], v[32:33], s[12:13], v[22:23]
	v_fma_f64 v[79:80], v[32:33], s[12:13], v[24:25]
	;; [unrolled: 1-line block ×10, first 2 shown]
	v_fma_f64 v[30:31], v[30:31], s[2:3], -v[56:57]
	v_fma_f64 v[36:37], v[18:19], s[10:11], -v[58:59]
	v_fma_f64 v[46:47], v[71:72], s[14:15], v[60:61]
	v_fma_f64 v[48:49], v[73:74], s[12:13], v[62:63]
	v_fma_f64 v[56:57], v[75:76], s[0:1], -v[64:65]
	v_fma_f64 v[58:59], v[77:78], s[6:7], -v[66:67]
	s_mov_b32 s1, exec_lo
	v_add_f64_e32 v[0:1], v[4:5], v[8:9]
	v_add_f64_e32 v[2:3], v[6:7], v[10:11]
	v_add_f64_e64 v[4:5], v[4:5], -v[8:9]
	v_add_f64_e64 v[6:7], v[6:7], -v[10:11]
	v_add_f64_e32 v[8:9], v[50:51], v[24:25]
	v_add_f64_e32 v[12:13], v[32:33], v[26:27]
	;; [unrolled: 1-line block ×8, first 2 shown]
	v_add_f64_e64 v[24:25], v[50:51], -v[24:25]
	v_add_f64_e64 v[28:29], v[32:33], -v[26:27]
	v_add_f64_e64 v[26:27], v[38:39], -v[46:47]
	v_add_f64_e64 v[32:33], v[34:35], -v[30:31]
	v_add_f64_e64 v[30:31], v[42:43], -v[48:49]
	v_add_f64_e64 v[34:35], v[44:45], -v[56:57]
	v_add_f64_e64 v[36:37], v[79:80], -v[36:37]
	v_add_f64_e64 v[38:39], v[40:41], -v[58:59]
	ds_store_b128 v70, v[0:3]
	ds_store_b128 v70, v[8:11] offset:208
	ds_store_b128 v70, v[12:15] offset:416
	;; [unrolled: 1-line block ×9, first 2 shown]
	global_wb scope:SCOPE_SE
	s_wait_dscnt 0x0
	s_barrier_signal -1
	s_barrier_wait -1
	global_inv scope:SCOPE_SE
	ds_load_b128 v[0:3], v68
	v_sub_nc_u32_e32 v10, v53, v69
                                        ; implicit-def: $vgpr6_vgpr7
                                        ; implicit-def: $vgpr4_vgpr5
                                        ; implicit-def: $vgpr8_vgpr9
	v_cmpx_ne_u32_e32 0, v52
	s_wait_alu 0xfffe
	s_xor_b32 s1, exec_lo, s1
	s_cbranch_execz .LBB0_15
; %bb.14:
	v_mov_b32_e32 v53, 0
	ds_load_b128 v[11:14], v10 offset:2080
	v_lshlrev_b64_e32 v[4:5], 4, v[52:53]
	s_delay_alu instid0(VALU_DEP_1) | instskip(SKIP_1) | instid1(VALU_DEP_2)
	v_add_co_u32 v4, s0, s4, v4
	s_wait_alu 0xf1ff
	v_add_co_ci_u32_e64 v5, s0, s5, v5, s0
	global_load_b128 v[6:9], v[4:5], off offset:1872
	s_wait_dscnt 0x0
	v_add_f64_e64 v[4:5], v[0:1], -v[11:12]
	v_add_f64_e32 v[15:16], v[2:3], v[13:14]
	v_add_f64_e64 v[2:3], v[2:3], -v[13:14]
	v_add_f64_e32 v[0:1], v[0:1], v[11:12]
	s_delay_alu instid0(VALU_DEP_4) | instskip(NEXT) | instid1(VALU_DEP_4)
	v_mul_f64_e32 v[4:5], 0.5, v[4:5]
	v_mul_f64_e32 v[13:14], 0.5, v[15:16]
	s_delay_alu instid0(VALU_DEP_4) | instskip(SKIP_1) | instid1(VALU_DEP_3)
	v_mul_f64_e32 v[2:3], 0.5, v[2:3]
	s_wait_loadcnt 0x0
	v_mul_f64_e32 v[11:12], v[4:5], v[8:9]
	s_delay_alu instid0(VALU_DEP_2) | instskip(SKIP_1) | instid1(VALU_DEP_3)
	v_fma_f64 v[15:16], v[13:14], v[8:9], v[2:3]
	v_fma_f64 v[2:3], v[13:14], v[8:9], -v[2:3]
	v_fma_f64 v[8:9], v[0:1], 0.5, v[11:12]
	v_fma_f64 v[0:1], v[0:1], 0.5, -v[11:12]
	s_delay_alu instid0(VALU_DEP_4) | instskip(NEXT) | instid1(VALU_DEP_4)
	v_fma_f64 v[11:12], -v[6:7], v[4:5], v[15:16]
	v_fma_f64 v[2:3], -v[6:7], v[4:5], v[2:3]
	ds_store_b64 v68, v[11:12] offset:8
	ds_store_b64 v10, v[2:3] offset:2088
	v_fma_f64 v[4:5], v[13:14], v[6:7], v[8:9]
	v_fma_f64 v[6:7], -v[13:14], v[6:7], v[0:1]
	v_dual_mov_b32 v8, v52 :: v_dual_mov_b32 v9, v53
                                        ; implicit-def: $vgpr0_vgpr1
                                        ; implicit-def: $vgpr53
.LBB0_15:
	s_wait_alu 0xfffe
	s_and_not1_saveexec_b32 s0, s1
	s_cbranch_execz .LBB0_17
; %bb.16:
	s_wait_dscnt 0x0
	v_add_f64_e32 v[4:5], v[0:1], v[2:3]
	v_add_f64_e64 v[6:7], v[0:1], -v[2:3]
	s_mov_b32 s2, 0
	v_mov_b32_e32 v8, 0
	s_wait_alu 0xfffe
	s_mov_b32 s3, s2
	s_wait_alu 0xfffe
	v_dual_mov_b32 v0, s2 :: v_dual_mov_b32 v1, s3
	v_mov_b32_e32 v9, 0
	ds_store_b64 v68, v[0:1] offset:8
	ds_store_b64 v10, v[0:1] offset:2088
	ds_load_b64 v[0:1], v53 offset:1048
	s_wait_dscnt 0x0
	v_xor_b32_e32 v1, 0x80000000, v1
	ds_store_b64 v53, v[0:1] offset:1048
.LBB0_17:
	s_wait_alu 0xfffe
	s_or_b32 exec_lo, exec_lo, s0
	s_wait_dscnt 0x0
	v_lshlrev_b64_e32 v[0:1], 4, v[8:9]
	s_add_nc_u64 s[0:1], s[4:5], 0x750
	s_wait_alu 0xfffe
	s_delay_alu instid0(VALU_DEP_1) | instskip(SKIP_1) | instid1(VALU_DEP_2)
	v_add_co_u32 v19, s0, s0, v0
	s_wait_alu 0xf1ff
	v_add_co_ci_u32_e64 v20, s0, s1, v1, s0
	s_clause 0x1
	global_load_b128 v[11:14], v[19:20], off offset:208
	global_load_b128 v[15:18], v[19:20], off offset:416
	ds_store_b64 v68, v[4:5]
	ds_store_b64 v10, v[6:7] offset:2080
	ds_load_b128 v[2:5], v68 offset:208
	ds_load_b128 v[6:9], v10 offset:1872
	s_wait_dscnt 0x0
	v_add_f64_e64 v[21:22], v[2:3], -v[6:7]
	v_add_f64_e32 v[23:24], v[4:5], v[8:9]
	v_add_f64_e64 v[4:5], v[4:5], -v[8:9]
	v_add_f64_e32 v[2:3], v[2:3], v[6:7]
	s_delay_alu instid0(VALU_DEP_4) | instskip(NEXT) | instid1(VALU_DEP_4)
	v_mul_f64_e32 v[8:9], 0.5, v[21:22]
	v_mul_f64_e32 v[21:22], 0.5, v[23:24]
	s_delay_alu instid0(VALU_DEP_4) | instskip(SKIP_1) | instid1(VALU_DEP_3)
	v_mul_f64_e32 v[4:5], 0.5, v[4:5]
	s_wait_loadcnt 0x1
	v_mul_f64_e32 v[6:7], v[8:9], v[13:14]
	s_delay_alu instid0(VALU_DEP_2) | instskip(SKIP_1) | instid1(VALU_DEP_3)
	v_fma_f64 v[23:24], v[21:22], v[13:14], v[4:5]
	v_fma_f64 v[4:5], v[21:22], v[13:14], -v[4:5]
	v_fma_f64 v[13:14], v[2:3], 0.5, v[6:7]
	v_fma_f64 v[2:3], v[2:3], 0.5, -v[6:7]
	s_delay_alu instid0(VALU_DEP_4) | instskip(NEXT) | instid1(VALU_DEP_4)
	v_fma_f64 v[23:24], -v[11:12], v[8:9], v[23:24]
	v_fma_f64 v[4:5], -v[11:12], v[8:9], v[4:5]
	global_load_b128 v[6:9], v[19:20], off offset:624
	v_fma_f64 v[13:14], v[21:22], v[11:12], v[13:14]
	v_fma_f64 v[2:3], -v[21:22], v[11:12], v[2:3]
	ds_store_2addr_b64 v68, v[13:14], v[23:24] offset0:26 offset1:27
	ds_store_b128 v10, v[2:5] offset:1872
	ds_load_b128 v[2:5], v68 offset:416
	ds_load_b128 v[11:14], v10 offset:1664
	s_wait_dscnt 0x0
	v_add_f64_e64 v[21:22], v[2:3], -v[11:12]
	v_add_f64_e32 v[23:24], v[4:5], v[13:14]
	v_add_f64_e64 v[4:5], v[4:5], -v[13:14]
	v_add_f64_e32 v[2:3], v[2:3], v[11:12]
	s_delay_alu instid0(VALU_DEP_4) | instskip(NEXT) | instid1(VALU_DEP_4)
	v_mul_f64_e32 v[13:14], 0.5, v[21:22]
	v_mul_f64_e32 v[21:22], 0.5, v[23:24]
	s_delay_alu instid0(VALU_DEP_4) | instskip(SKIP_1) | instid1(VALU_DEP_3)
	v_mul_f64_e32 v[4:5], 0.5, v[4:5]
	s_wait_loadcnt 0x1
	v_mul_f64_e32 v[11:12], v[13:14], v[17:18]
	s_delay_alu instid0(VALU_DEP_2) | instskip(SKIP_1) | instid1(VALU_DEP_3)
	v_fma_f64 v[23:24], v[21:22], v[17:18], v[4:5]
	v_fma_f64 v[4:5], v[21:22], v[17:18], -v[4:5]
	v_fma_f64 v[17:18], v[2:3], 0.5, v[11:12]
	v_fma_f64 v[2:3], v[2:3], 0.5, -v[11:12]
	s_delay_alu instid0(VALU_DEP_4) | instskip(NEXT) | instid1(VALU_DEP_4)
	v_fma_f64 v[23:24], -v[15:16], v[13:14], v[23:24]
	v_fma_f64 v[4:5], -v[15:16], v[13:14], v[4:5]
	global_load_b128 v[11:14], v[19:20], off offset:832
	v_fma_f64 v[17:18], v[21:22], v[15:16], v[17:18]
	v_fma_f64 v[2:3], -v[21:22], v[15:16], v[2:3]
	ds_store_2addr_b64 v68, v[17:18], v[23:24] offset0:52 offset1:53
	ds_store_b128 v10, v[2:5] offset:1664
	ds_load_b128 v[2:5], v68 offset:624
	ds_load_b128 v[15:18], v10 offset:1456
	s_wait_dscnt 0x0
	v_add_f64_e64 v[19:20], v[2:3], -v[15:16]
	v_add_f64_e32 v[21:22], v[4:5], v[17:18]
	v_add_f64_e64 v[4:5], v[4:5], -v[17:18]
	v_add_f64_e32 v[2:3], v[2:3], v[15:16]
	s_delay_alu instid0(VALU_DEP_4) | instskip(NEXT) | instid1(VALU_DEP_4)
	v_mul_f64_e32 v[17:18], 0.5, v[19:20]
	v_mul_f64_e32 v[19:20], 0.5, v[21:22]
	s_delay_alu instid0(VALU_DEP_4) | instskip(SKIP_1) | instid1(VALU_DEP_3)
	v_mul_f64_e32 v[4:5], 0.5, v[4:5]
	s_wait_loadcnt 0x1
	v_mul_f64_e32 v[15:16], v[17:18], v[8:9]
	s_delay_alu instid0(VALU_DEP_2) | instskip(SKIP_1) | instid1(VALU_DEP_3)
	v_fma_f64 v[21:22], v[19:20], v[8:9], v[4:5]
	v_fma_f64 v[4:5], v[19:20], v[8:9], -v[4:5]
	v_fma_f64 v[8:9], v[2:3], 0.5, v[15:16]
	v_fma_f64 v[2:3], v[2:3], 0.5, -v[15:16]
	s_delay_alu instid0(VALU_DEP_4) | instskip(NEXT) | instid1(VALU_DEP_4)
	v_fma_f64 v[15:16], -v[6:7], v[17:18], v[21:22]
	v_fma_f64 v[4:5], -v[6:7], v[17:18], v[4:5]
	s_delay_alu instid0(VALU_DEP_4) | instskip(NEXT) | instid1(VALU_DEP_4)
	v_fma_f64 v[8:9], v[19:20], v[6:7], v[8:9]
	v_fma_f64 v[2:3], -v[19:20], v[6:7], v[2:3]
	ds_store_2addr_b64 v68, v[8:9], v[15:16] offset0:78 offset1:79
	ds_store_b128 v10, v[2:5] offset:1456
	ds_load_b128 v[2:5], v68 offset:832
	ds_load_b128 v[6:9], v10 offset:1248
	s_wait_dscnt 0x0
	v_add_f64_e64 v[15:16], v[2:3], -v[6:7]
	v_add_f64_e32 v[17:18], v[4:5], v[8:9]
	v_add_f64_e64 v[4:5], v[4:5], -v[8:9]
	v_add_f64_e32 v[2:3], v[2:3], v[6:7]
	s_delay_alu instid0(VALU_DEP_4) | instskip(NEXT) | instid1(VALU_DEP_4)
	v_mul_f64_e32 v[8:9], 0.5, v[15:16]
	v_mul_f64_e32 v[15:16], 0.5, v[17:18]
	s_delay_alu instid0(VALU_DEP_4) | instskip(SKIP_1) | instid1(VALU_DEP_3)
	v_mul_f64_e32 v[4:5], 0.5, v[4:5]
	s_wait_loadcnt 0x0
	v_mul_f64_e32 v[6:7], v[8:9], v[13:14]
	s_delay_alu instid0(VALU_DEP_2) | instskip(SKIP_1) | instid1(VALU_DEP_3)
	v_fma_f64 v[17:18], v[15:16], v[13:14], v[4:5]
	v_fma_f64 v[4:5], v[15:16], v[13:14], -v[4:5]
	v_fma_f64 v[13:14], v[2:3], 0.5, v[6:7]
	v_fma_f64 v[2:3], v[2:3], 0.5, -v[6:7]
	s_delay_alu instid0(VALU_DEP_4) | instskip(NEXT) | instid1(VALU_DEP_4)
	v_fma_f64 v[6:7], -v[11:12], v[8:9], v[17:18]
	v_fma_f64 v[4:5], -v[11:12], v[8:9], v[4:5]
	s_delay_alu instid0(VALU_DEP_4) | instskip(NEXT) | instid1(VALU_DEP_4)
	v_fma_f64 v[8:9], v[15:16], v[11:12], v[13:14]
	v_fma_f64 v[2:3], -v[15:16], v[11:12], v[2:3]
	ds_store_2addr_b64 v68, v[8:9], v[6:7] offset0:104 offset1:105
	ds_store_b128 v10, v[2:5] offset:1248
	global_wb scope:SCOPE_SE
	s_wait_dscnt 0x0
	s_barrier_signal -1
	s_barrier_wait -1
	global_inv scope:SCOPE_SE
	s_and_saveexec_b32 s0, vcc_lo
	s_cbranch_execz .LBB0_20
; %bb.18:
	ds_load_b128 v[4:7], v68
	ds_load_b128 v[8:11], v68 offset:208
	ds_load_b128 v[12:15], v68 offset:416
	;; [unrolled: 1-line block ×9, first 2 shown]
	v_add_co_u32 v2, vcc_lo, s8, v54
	s_wait_alu 0xfffd
	v_add_co_ci_u32_e32 v3, vcc_lo, s9, v55, vcc_lo
	s_delay_alu instid0(VALU_DEP_2) | instskip(SKIP_1) | instid1(VALU_DEP_2)
	v_add_co_u32 v0, vcc_lo, v2, v0
	s_wait_alu 0xfffd
	v_add_co_ci_u32_e32 v1, vcc_lo, v3, v1, vcc_lo
	v_cmp_eq_u32_e32 vcc_lo, 12, v52
	s_wait_dscnt 0x9
	global_store_b128 v[0:1], v[4:7], off
	s_wait_dscnt 0x8
	global_store_b128 v[0:1], v[8:11], off offset:208
	s_wait_dscnt 0x7
	global_store_b128 v[0:1], v[12:15], off offset:416
	s_wait_dscnt 0x6
	global_store_b128 v[0:1], v[16:19], off offset:624
	s_wait_dscnt 0x5
	global_store_b128 v[0:1], v[20:23], off offset:832
	s_wait_dscnt 0x4
	global_store_b128 v[0:1], v[24:27], off offset:1040
	s_wait_dscnt 0x3
	global_store_b128 v[0:1], v[28:31], off offset:1248
	s_wait_dscnt 0x2
	global_store_b128 v[0:1], v[32:35], off offset:1456
	s_wait_dscnt 0x1
	global_store_b128 v[0:1], v[36:39], off offset:1664
	s_wait_dscnt 0x0
	global_store_b128 v[0:1], v[40:43], off offset:1872
	s_and_b32 exec_lo, exec_lo, vcc_lo
	s_cbranch_execz .LBB0_20
; %bb.19:
	ds_load_b128 v[4:7], v68 offset:1888
	s_wait_dscnt 0x0
	global_store_b128 v[2:3], v[4:7], off offset:2080
.LBB0_20:
	s_nop 0
	s_sendmsg sendmsg(MSG_DEALLOC_VGPRS)
	s_endpgm
	.section	.rodata,"a",@progbits
	.p2align	6, 0x0
	.amdhsa_kernel fft_rtc_fwd_len130_factors_13_10_wgs_52_tpt_13_dp_ip_CI_unitstride_sbrr_R2C_dirReg
		.amdhsa_group_segment_fixed_size 0
		.amdhsa_private_segment_fixed_size 0
		.amdhsa_kernarg_size 88
		.amdhsa_user_sgpr_count 2
		.amdhsa_user_sgpr_dispatch_ptr 0
		.amdhsa_user_sgpr_queue_ptr 0
		.amdhsa_user_sgpr_kernarg_segment_ptr 1
		.amdhsa_user_sgpr_dispatch_id 0
		.amdhsa_user_sgpr_private_segment_size 0
		.amdhsa_wavefront_size32 1
		.amdhsa_uses_dynamic_stack 0
		.amdhsa_enable_private_segment 0
		.amdhsa_system_sgpr_workgroup_id_x 1
		.amdhsa_system_sgpr_workgroup_id_y 0
		.amdhsa_system_sgpr_workgroup_id_z 0
		.amdhsa_system_sgpr_workgroup_info 0
		.amdhsa_system_vgpr_workitem_id 0
		.amdhsa_next_free_vgpr 238
		.amdhsa_next_free_sgpr 42
		.amdhsa_reserve_vcc 1
		.amdhsa_float_round_mode_32 0
		.amdhsa_float_round_mode_16_64 0
		.amdhsa_float_denorm_mode_32 3
		.amdhsa_float_denorm_mode_16_64 3
		.amdhsa_fp16_overflow 0
		.amdhsa_workgroup_processor_mode 1
		.amdhsa_memory_ordered 1
		.amdhsa_forward_progress 0
		.amdhsa_round_robin_scheduling 0
		.amdhsa_exception_fp_ieee_invalid_op 0
		.amdhsa_exception_fp_denorm_src 0
		.amdhsa_exception_fp_ieee_div_zero 0
		.amdhsa_exception_fp_ieee_overflow 0
		.amdhsa_exception_fp_ieee_underflow 0
		.amdhsa_exception_fp_ieee_inexact 0
		.amdhsa_exception_int_div_zero 0
	.end_amdhsa_kernel
	.text
.Lfunc_end0:
	.size	fft_rtc_fwd_len130_factors_13_10_wgs_52_tpt_13_dp_ip_CI_unitstride_sbrr_R2C_dirReg, .Lfunc_end0-fft_rtc_fwd_len130_factors_13_10_wgs_52_tpt_13_dp_ip_CI_unitstride_sbrr_R2C_dirReg
                                        ; -- End function
	.section	.AMDGPU.csdata,"",@progbits
; Kernel info:
; codeLenInByte = 7684
; NumSgprs: 44
; NumVgprs: 238
; ScratchSize: 0
; MemoryBound: 0
; FloatMode: 240
; IeeeMode: 1
; LDSByteSize: 0 bytes/workgroup (compile time only)
; SGPRBlocks: 5
; VGPRBlocks: 29
; NumSGPRsForWavesPerEU: 44
; NumVGPRsForWavesPerEU: 238
; Occupancy: 6
; WaveLimiterHint : 1
; COMPUTE_PGM_RSRC2:SCRATCH_EN: 0
; COMPUTE_PGM_RSRC2:USER_SGPR: 2
; COMPUTE_PGM_RSRC2:TRAP_HANDLER: 0
; COMPUTE_PGM_RSRC2:TGID_X_EN: 1
; COMPUTE_PGM_RSRC2:TGID_Y_EN: 0
; COMPUTE_PGM_RSRC2:TGID_Z_EN: 0
; COMPUTE_PGM_RSRC2:TIDIG_COMP_CNT: 0
	.text
	.p2alignl 7, 3214868480
	.fill 96, 4, 3214868480
	.type	__hip_cuid_6a5e71e23ab60a8a,@object ; @__hip_cuid_6a5e71e23ab60a8a
	.section	.bss,"aw",@nobits
	.globl	__hip_cuid_6a5e71e23ab60a8a
__hip_cuid_6a5e71e23ab60a8a:
	.byte	0                               ; 0x0
	.size	__hip_cuid_6a5e71e23ab60a8a, 1

	.ident	"AMD clang version 19.0.0git (https://github.com/RadeonOpenCompute/llvm-project roc-6.4.0 25133 c7fe45cf4b819c5991fe208aaa96edf142730f1d)"
	.section	".note.GNU-stack","",@progbits
	.addrsig
	.addrsig_sym __hip_cuid_6a5e71e23ab60a8a
	.amdgpu_metadata
---
amdhsa.kernels:
  - .args:
      - .actual_access:  read_only
        .address_space:  global
        .offset:         0
        .size:           8
        .value_kind:     global_buffer
      - .offset:         8
        .size:           8
        .value_kind:     by_value
      - .actual_access:  read_only
        .address_space:  global
        .offset:         16
        .size:           8
        .value_kind:     global_buffer
      - .actual_access:  read_only
        .address_space:  global
        .offset:         24
        .size:           8
        .value_kind:     global_buffer
      - .offset:         32
        .size:           8
        .value_kind:     by_value
      - .actual_access:  read_only
        .address_space:  global
        .offset:         40
        .size:           8
        .value_kind:     global_buffer
      - .actual_access:  read_only
        .address_space:  global
        .offset:         48
        .size:           8
        .value_kind:     global_buffer
      - .offset:         56
        .size:           4
        .value_kind:     by_value
      - .actual_access:  read_only
        .address_space:  global
        .offset:         64
        .size:           8
        .value_kind:     global_buffer
      - .actual_access:  read_only
        .address_space:  global
        .offset:         72
        .size:           8
        .value_kind:     global_buffer
      - .address_space:  global
        .offset:         80
        .size:           8
        .value_kind:     global_buffer
    .group_segment_fixed_size: 0
    .kernarg_segment_align: 8
    .kernarg_segment_size: 88
    .language:       OpenCL C
    .language_version:
      - 2
      - 0
    .max_flat_workgroup_size: 52
    .name:           fft_rtc_fwd_len130_factors_13_10_wgs_52_tpt_13_dp_ip_CI_unitstride_sbrr_R2C_dirReg
    .private_segment_fixed_size: 0
    .sgpr_count:     44
    .sgpr_spill_count: 0
    .symbol:         fft_rtc_fwd_len130_factors_13_10_wgs_52_tpt_13_dp_ip_CI_unitstride_sbrr_R2C_dirReg.kd
    .uniform_work_group_size: 1
    .uses_dynamic_stack: false
    .vgpr_count:     238
    .vgpr_spill_count: 0
    .wavefront_size: 32
    .workgroup_processor_mode: 1
amdhsa.target:   amdgcn-amd-amdhsa--gfx1201
amdhsa.version:
  - 1
  - 2
...

	.end_amdgpu_metadata
